;; amdgpu-corpus repo=ROCm/rocFFT kind=compiled arch=gfx1030 opt=O3
	.text
	.amdgcn_target "amdgcn-amd-amdhsa--gfx1030"
	.amdhsa_code_object_version 6
	.protected	bluestein_single_fwd_len693_dim1_dp_op_CI_CI ; -- Begin function bluestein_single_fwd_len693_dim1_dp_op_CI_CI
	.globl	bluestein_single_fwd_len693_dim1_dp_op_CI_CI
	.p2align	8
	.type	bluestein_single_fwd_len693_dim1_dp_op_CI_CI,@function
bluestein_single_fwd_len693_dim1_dp_op_CI_CI: ; @bluestein_single_fwd_len693_dim1_dp_op_CI_CI
; %bb.0:
	s_load_dwordx4 s[0:3], s[4:5], 0x28
	v_mul_u32_u24_e32 v1, 0x296, v0
	v_mov_b32_e32 v109, 0
	v_lshrrev_b32_e32 v1, 16, v1
	v_add_nc_u32_e32 v108, s6, v1
	s_waitcnt lgkmcnt(0)
	v_cmp_gt_u64_e32 vcc_lo, s[0:1], v[108:109]
	s_and_saveexec_b32 s0, vcc_lo
	s_cbranch_execz .LBB0_23
; %bb.1:
	s_clause 0x1
	s_load_dwordx2 s[14:15], s[4:5], 0x0
	s_load_dwordx2 s[12:13], s[4:5], 0x38
	v_mul_lo_u16 v1, 0x63, v1
	v_sub_nc_u16 v0, v0, v1
	v_and_b32_e32 v190, 0xffff, v0
	v_cmp_gt_u16_e32 vcc_lo, 63, v0
	v_lshlrev_b32_e32 v189, 4, v190
	s_and_saveexec_b32 s1, vcc_lo
	s_cbranch_execz .LBB0_3
; %bb.2:
	s_load_dwordx2 s[6:7], s[4:5], 0x18
	s_waitcnt lgkmcnt(0)
	v_add_co_u32 v21, s0, s14, v189
	v_add_co_ci_u32_e64 v22, null, s15, 0, s0
	s_load_dwordx4 s[8:11], s[6:7], 0x0
	s_clause 0x2
	global_load_dwordx4 v[0:3], v189, s[14:15]
	global_load_dwordx4 v[4:7], v189, s[14:15] offset:1008
	global_load_dwordx4 v[8:11], v189, s[14:15] offset:2016
	s_waitcnt lgkmcnt(0)
	v_mad_u64_u32 v[12:13], null, s10, v108, 0
	v_mad_u64_u32 v[14:15], null, s8, v190, 0
	s_mul_i32 s6, s9, 0x3f0
	s_mul_hi_u32 s7, s8, 0x3f0
	s_add_i32 s7, s7, s6
	v_mad_u64_u32 v[16:17], null, s11, v108, v[13:14]
	v_add_co_u32 v17, s0, 0x800, v21
	v_add_co_ci_u32_e64 v18, s0, 0, v22, s0
	v_add_co_u32 v24, s0, 0x1000, v21
	v_mad_u64_u32 v[19:20], null, s9, v190, v[15:16]
	v_mov_b32_e32 v13, v16
	v_add_co_ci_u32_e64 v25, s0, 0, v22, s0
	v_add_co_u32 v32, s0, 0x1800, v21
	v_lshlrev_b64 v[12:13], 4, v[12:13]
	v_mov_b32_e32 v15, v19
	v_add_co_ci_u32_e64 v33, s0, 0, v22, s0
	v_add_co_u32 v80, s0, 0x2000, v21
	v_add_co_ci_u32_e64 v81, s0, 0, v22, s0
	v_lshlrev_b64 v[14:15], 4, v[14:15]
	v_add_co_u32 v12, s0, s2, v12
	v_add_co_ci_u32_e64 v13, s0, s3, v13, s0
	s_mul_i32 s2, s8, 0x3f0
	v_add_co_u32 v36, s0, v12, v14
	v_add_co_ci_u32_e64 v37, s0, v13, v15, s0
	s_clause 0x1
	global_load_dwordx4 v[12:15], v[17:18], off offset:976
	global_load_dwordx4 v[16:19], v[17:18], off offset:1984
	v_add_co_u32 v40, s0, v36, s2
	v_add_co_ci_u32_e64 v41, s0, s7, v37, s0
	s_clause 0x1
	global_load_dwordx4 v[20:23], v[24:25], off offset:944
	global_load_dwordx4 v[24:27], v[24:25], off offset:1952
	;; [unrolled: 5-line block ×3, first 2 shown]
	v_add_co_u32 v48, s0, v44, s2
	v_add_co_ci_u32_e64 v49, s0, s7, v45, s0
	s_clause 0x1
	global_load_dwordx4 v[36:39], v[36:37], off
	global_load_dwordx4 v[40:43], v[40:41], off
	v_add_co_u32 v52, s0, v48, s2
	v_add_co_ci_u32_e64 v53, s0, s7, v49, s0
	s_clause 0x1
	global_load_dwordx4 v[44:47], v[44:45], off
	global_load_dwordx4 v[48:51], v[48:49], off
	v_add_co_u32 v56, s0, v52, s2
	v_add_co_ci_u32_e64 v57, s0, s7, v53, s0
	global_load_dwordx4 v[52:55], v[52:53], off
	v_add_co_u32 v60, s0, v56, s2
	v_add_co_ci_u32_e64 v61, s0, s7, v57, s0
	;; [unrolled: 3-line block ×5, first 2 shown]
	v_add_co_u32 v84, s0, v72, s2
	v_add_co_ci_u32_e64 v85, s0, s7, v73, s0
	global_load_dwordx4 v[68:71], v[68:69], off
	global_load_dwordx4 v[72:75], v[72:73], off
	s_clause 0x1
	global_load_dwordx4 v[76:79], v[80:81], off offset:880
	global_load_dwordx4 v[80:83], v[80:81], off offset:1888
	global_load_dwordx4 v[84:87], v[84:85], off
	s_waitcnt vmcnt(12)
	v_mul_f64 v[88:89], v[38:39], v[2:3]
	v_mul_f64 v[2:3], v[36:37], v[2:3]
	s_waitcnt vmcnt(11)
	v_mul_f64 v[90:91], v[42:43], v[6:7]
	v_mul_f64 v[6:7], v[40:41], v[6:7]
	;; [unrolled: 3-line block ×11, first 2 shown]
	v_fma_f64 v[34:35], v[36:37], v[0:1], v[88:89]
	v_fma_f64 v[36:37], v[38:39], v[0:1], -v[2:3]
	v_fma_f64 v[0:1], v[40:41], v[4:5], v[90:91]
	v_fma_f64 v[2:3], v[42:43], v[4:5], -v[6:7]
	;; [unrolled: 2-line block ×11, first 2 shown]
	ds_write_b128 v189, v[34:37]
	ds_write_b128 v189, v[0:3] offset:1008
	ds_write_b128 v189, v[4:7] offset:2016
	;; [unrolled: 1-line block ×10, first 2 shown]
.LBB0_3:
	s_or_b32 exec_lo, exec_lo, s1
	s_clause 0x1
	s_load_dwordx2 s[0:1], s[4:5], 0x20
	s_load_dwordx2 s[2:3], s[4:5], 0x8
	s_waitcnt lgkmcnt(0)
	s_barrier
	buffer_gl0_inv
                                        ; implicit-def: $vgpr8_vgpr9
                                        ; implicit-def: $vgpr48_vgpr49
                                        ; implicit-def: $vgpr44_vgpr45
                                        ; implicit-def: $vgpr40_vgpr41
                                        ; implicit-def: $vgpr36_vgpr37
                                        ; implicit-def: $vgpr32_vgpr33
                                        ; implicit-def: $vgpr28_vgpr29
                                        ; implicit-def: $vgpr24_vgpr25
                                        ; implicit-def: $vgpr20_vgpr21
                                        ; implicit-def: $vgpr16_vgpr17
                                        ; implicit-def: $vgpr12_vgpr13
	s_and_saveexec_b32 s4, vcc_lo
	s_cbranch_execz .LBB0_5
; %bb.4:
	ds_read_b128 v[8:11], v189
	ds_read_b128 v[48:51], v189 offset:1008
	ds_read_b128 v[44:47], v189 offset:2016
	;; [unrolled: 1-line block ×10, first 2 shown]
.LBB0_5:
	s_or_b32 exec_lo, exec_lo, s4
	s_waitcnt lgkmcnt(0)
	v_add_f64 v[74:75], v[50:51], -v[14:15]
	v_add_f64 v[58:59], v[48:49], -v[12:13]
	s_mov_b32 s8, 0xf8bb580b
	s_mov_b32 s9, 0xbfe14ced
	v_add_f64 v[56:57], v[48:49], v[12:13]
	v_add_f64 v[82:83], v[46:47], -v[18:19]
	v_add_f64 v[88:89], v[50:51], v[14:15]
	v_add_f64 v[54:55], v[44:45], -v[16:17]
	s_mov_b32 s6, 0x8764f0ba
	s_mov_b32 s10, 0x8eee2c13
	;; [unrolled: 1-line block ×8, first 2 shown]
	v_add_f64 v[52:53], v[44:45], v[16:17]
	v_add_f64 v[80:81], v[46:47], v[18:19]
	s_mov_b32 s4, 0xd9c712b6
	s_mov_b32 s16, 0x640f44db
	s_mov_b32 s18, 0x7f775887
	s_mov_b32 s26, 0xfd768dbf
	v_mul_f64 v[72:73], v[74:75], s[8:9]
	v_mul_f64 v[76:77], v[58:59], s[8:9]
	;; [unrolled: 1-line block ×10, first 2 shown]
	s_mov_b32 s5, 0x3fda9628
	s_mov_b32 s17, 0xbfc2375f
	;; [unrolled: 1-line block ×6, first 2 shown]
	v_add_f64 v[94:95], v[42:43], -v[22:23]
	v_add_f64 v[78:79], v[40:41], -v[20:21]
	v_mul_f64 v[117:118], v[82:83], s[22:23]
	v_mul_f64 v[121:122], v[54:55], s[22:23]
	;; [unrolled: 1-line block ×4, first 2 shown]
	v_fma_f64 v[0:1], v[56:57], s[6:7], v[72:73]
	v_fma_f64 v[2:3], v[88:89], s[6:7], -v[76:77]
	v_fma_f64 v[4:5], v[56:57], s[4:5], v[98:99]
	v_fma_f64 v[6:7], v[88:89], s[4:5], -v[100:101]
	v_fma_f64 v[68:69], v[56:57], s[16:17], v[113:114]
	v_fma_f64 v[64:65], v[52:53], s[4:5], v[90:91]
	v_fma_f64 v[70:71], v[88:89], s[16:17], -v[115:116]
	v_fma_f64 v[66:67], v[80:81], s[4:5], -v[92:93]
	v_mul_f64 v[145:146], v[82:83], s[34:35]
	v_mul_f64 v[157:158], v[54:55], s[34:35]
	v_fma_f64 v[127:128], v[56:57], s[18:19], v[141:142]
	v_fma_f64 v[129:130], v[88:89], s[18:19], -v[161:162]
	s_mov_b32 s24, 0x9bcd5057
	s_mov_b32 s25, 0xbfeeb42a
	;; [unrolled: 1-line block ×4, first 2 shown]
	v_add_f64 v[60:61], v[40:41], v[20:21]
	v_add_f64 v[86:87], v[42:43], v[22:23]
	v_add_f64 v[102:103], v[38:39], -v[26:27]
	v_add_f64 v[84:85], v[36:37], -v[24:25]
	v_mul_f64 v[109:110], v[94:95], s[20:21]
	v_mul_f64 v[111:112], v[78:79], s[20:21]
	v_add_f64 v[0:1], v[8:9], v[0:1]
	v_add_f64 v[2:3], v[10:11], v[2:3]
	v_mul_f64 v[119:120], v[94:95], s[26:27]
	v_mul_f64 v[123:124], v[78:79], s[26:27]
	;; [unrolled: 1-line block ×3, first 2 shown]
	v_fma_f64 v[135:136], v[52:53], s[18:19], v[117:118]
	v_fma_f64 v[137:138], v[80:81], s[18:19], -v[121:122]
	v_add_f64 v[4:5], v[8:9], v[4:5]
	v_add_f64 v[6:7], v[10:11], v[6:7]
	v_fma_f64 v[143:144], v[52:53], s[24:25], v[125:126]
	v_fma_f64 v[147:148], v[80:81], s[24:25], -v[133:134]
	v_add_f64 v[68:69], v[8:9], v[68:69]
	v_add_f64 v[70:71], v[10:11], v[70:71]
	v_mul_f64 v[169:170], v[78:79], s[30:31]
	v_add_f64 v[149:150], v[8:9], v[127:128]
	v_add_f64 v[155:156], v[10:11], v[129:130]
	v_mul_f64 v[173:174], v[94:95], s[8:9]
	v_mul_f64 v[175:176], v[78:79], s[8:9]
	s_mov_b32 s29, 0xbfd207e7
	s_mov_b32 s28, s26
	v_add_f64 v[62:63], v[36:37], v[24:25]
	v_add_f64 v[96:97], v[38:39], v[26:27]
	;; [unrolled: 1-line block ×4, first 2 shown]
	v_fma_f64 v[64:65], v[52:53], s[16:17], v[145:146]
	v_fma_f64 v[66:67], v[80:81], s[16:17], -v[157:158]
	v_add_f64 v[153:154], v[34:35], -v[30:31]
	v_mul_f64 v[104:105], v[102:103], s[22:23]
	v_mul_f64 v[106:107], v[84:85], s[22:23]
	v_fma_f64 v[131:132], v[60:61], s[16:17], v[109:110]
	v_fma_f64 v[139:140], v[86:87], s[16:17], -v[111:112]
	v_add_f64 v[177:178], v[32:33], -v[28:29]
	v_mul_f64 v[127:128], v[102:103], s[34:35]
	v_mul_f64 v[129:130], v[84:85], s[34:35]
	v_fma_f64 v[165:166], v[60:61], s[24:25], v[119:120]
	v_fma_f64 v[167:168], v[86:87], s[24:25], -v[123:124]
	v_add_f64 v[4:5], v[135:136], v[4:5]
	v_add_f64 v[6:7], v[137:138], v[6:7]
	v_fma_f64 v[185:186], v[60:61], s[4:5], v[151:152]
	v_add_f64 v[68:69], v[143:144], v[68:69]
	v_add_f64 v[70:71], v[147:148], v[70:71]
	v_fma_f64 v[187:188], v[86:87], s[4:5], -v[169:170]
	v_mul_f64 v[143:144], v[102:103], s[8:9]
	v_mul_f64 v[147:148], v[84:85], s[8:9]
	v_fma_f64 v[191:192], v[60:61], s[6:7], v[173:174]
	v_fma_f64 v[193:194], v[86:87], s[6:7], -v[175:176]
	v_add_f64 v[64:65], v[64:65], v[149:150]
	v_add_f64 v[66:67], v[66:67], v[155:156]
	v_mul_f64 v[159:160], v[102:103], s[28:29]
	v_mul_f64 v[163:164], v[84:85], s[28:29]
	s_mov_b32 s37, 0x3fe14ced
	s_mov_b32 s36, s8
	v_fma_f64 v[181:182], v[62:63], s[18:19], v[104:105]
	v_fma_f64 v[183:184], v[96:97], s[18:19], -v[106:107]
	v_add_f64 v[0:1], v[131:132], v[0:1]
	v_add_f64 v[2:3], v[139:140], v[2:3]
	;; [unrolled: 1-line block ×3, first 2 shown]
	v_mul_f64 v[131:132], v[153:154], s[28:29]
	v_add_f64 v[179:180], v[34:35], v[30:31]
	v_mul_f64 v[135:136], v[177:178], s[28:29]
	v_add_f64 v[4:5], v[165:166], v[4:5]
	v_add_f64 v[6:7], v[167:168], v[6:7]
	v_fma_f64 v[195:196], v[62:63], s[16:17], v[127:128]
	v_fma_f64 v[197:198], v[96:97], s[16:17], -v[129:130]
	v_mul_f64 v[137:138], v[153:154], s[36:37]
	v_mul_f64 v[139:140], v[177:178], s[36:37]
	v_add_f64 v[68:69], v[185:186], v[68:69]
	v_add_f64 v[70:71], v[187:188], v[70:71]
	v_fma_f64 v[185:186], v[62:63], s[6:7], v[143:144]
	v_fma_f64 v[187:188], v[96:97], s[6:7], -v[147:148]
	v_mul_f64 v[149:150], v[153:154], s[22:23]
	;; [unrolled: 6-line block ×3, first 2 shown]
	v_mul_f64 v[167:168], v[177:178], s[30:31]
	v_add_f64 v[0:1], v[181:182], v[0:1]
	v_add_f64 v[2:3], v[183:184], v[2:3]
	v_fma_f64 v[181:182], v[171:172], s[24:25], v[131:132]
	v_fma_f64 v[183:184], v[179:180], s[24:25], -v[135:136]
	s_barrier
	v_add_f64 v[4:5], v[195:196], v[4:5]
	v_add_f64 v[6:7], v[197:198], v[6:7]
	v_fma_f64 v[195:196], v[171:172], s[6:7], v[137:138]
	v_fma_f64 v[197:198], v[179:180], s[6:7], -v[139:140]
	buffer_gl0_inv
	v_add_f64 v[68:69], v[185:186], v[68:69]
	v_add_f64 v[70:71], v[187:188], v[70:71]
	v_fma_f64 v[185:186], v[171:172], s[18:19], v[149:150]
	v_fma_f64 v[187:188], v[179:180], s[18:19], -v[155:156]
	v_add_f64 v[64:65], v[191:192], v[64:65]
	v_add_f64 v[66:67], v[193:194], v[66:67]
	v_fma_f64 v[191:192], v[171:172], s[4:5], v[165:166]
	v_fma_f64 v[193:194], v[179:180], s[4:5], -v[167:168]
	v_add_f64 v[0:1], v[181:182], v[0:1]
	v_add_f64 v[2:3], v[183:184], v[2:3]
	v_add_f64 v[4:5], v[195:196], v[4:5]
	v_add_f64 v[6:7], v[197:198], v[6:7]
	v_add_f64 v[68:69], v[185:186], v[68:69]
	v_add_f64 v[70:71], v[187:188], v[70:71]
	v_add_f64 v[64:65], v[191:192], v[64:65]
	v_add_f64 v[66:67], v[193:194], v[66:67]
	v_mul_lo_u16 v191, v190, 11
	s_and_saveexec_b32 s33, vcc_lo
	s_cbranch_execz .LBB0_7
; %bb.6:
	v_add_f64 v[50:51], v[10:11], v[50:51]
	v_add_f64 v[48:49], v[8:9], v[48:49]
	v_mul_f64 v[181:182], v[88:89], s[24:25]
	v_mul_f64 v[74:75], v[74:75], s[28:29]
	;; [unrolled: 1-line block ×20, first 2 shown]
	v_add_f64 v[46:47], v[50:51], v[46:47]
	v_add_f64 v[44:45], v[48:49], v[44:45]
	v_mul_f64 v[48:49], v[80:81], s[6:7]
	v_mul_f64 v[50:51], v[82:83], s[36:37]
	;; [unrolled: 1-line block ×3, first 2 shown]
	v_fma_f64 v[252:253], v[58:59], s[26:27], v[181:182]
	v_fma_f64 v[58:59], v[58:59], s[28:29], v[181:182]
	;; [unrolled: 1-line block ×3, first 2 shown]
	v_add_f64 v[161:162], v[161:162], v[183:184]
	v_add_f64 v[115:116], v[115:116], v[192:193]
	;; [unrolled: 1-line block ×3, first 2 shown]
	v_add_f64 v[72:73], v[198:199], -v[72:73]
	v_add_f64 v[113:114], v[196:197], -v[113:114]
	;; [unrolled: 1-line block ×3, first 2 shown]
	v_fma_f64 v[56:57], v[56:57], s[24:25], -v[74:75]
	v_mul_f64 v[82:83], v[60:61], s[4:5]
	v_mul_f64 v[220:221], v[60:61], s[6:7]
	;; [unrolled: 1-line block ×7, first 2 shown]
	v_add_f64 v[42:43], v[46:47], v[42:43]
	v_add_f64 v[40:41], v[44:45], v[40:41]
	v_mul_f64 v[86:87], v[86:87], s[24:25]
	v_fma_f64 v[185:186], v[54:55], s[8:9], v[48:49]
	v_fma_f64 v[48:49], v[54:55], s[36:37], v[48:49]
	;; [unrolled: 1-line block ×3, first 2 shown]
	v_fma_f64 v[50:51], v[52:53], s[6:7], -v[50:51]
	v_add_f64 v[52:53], v[175:176], v[212:213]
	v_fma_f64 v[175:176], v[60:61], s[18:19], v[94:95]
	v_fma_f64 v[60:61], v[60:61], s[18:19], -v[94:95]
	v_add_f64 v[94:95], v[208:209], -v[145:146]
	v_add_f64 v[80:81], v[121:122], v[80:81]
	v_add_f64 v[92:93], v[92:93], v[202:203]
	v_add_f64 v[90:91], v[200:201], -v[90:91]
	v_add_f64 v[121:122], v[10:11], v[252:253]
	v_add_f64 v[58:59], v[10:11], v[58:59]
	;; [unrolled: 1-line block ×6, first 2 shown]
	v_add_f64 v[117:118], v[224:225], -v[117:118]
	v_add_f64 v[125:126], v[204:205], -v[125:126]
	v_add_f64 v[38:39], v[42:43], v[38:39]
	v_add_f64 v[36:37], v[40:41], v[36:37]
	;; [unrolled: 1-line block ×3, first 2 shown]
	v_add_f64 v[42:43], v[194:195], -v[98:99]
	v_mul_f64 v[214:215], v[179:180], s[16:17]
	v_mul_f64 v[232:233], v[62:63], s[18:19]
	;; [unrolled: 1-line block ×10, first 2 shown]
	s_mov_b32 s39, 0x3fe82f19
	v_add_f64 v[48:49], v[48:49], v[58:59]
	s_mov_b32 s38, s22
	v_add_f64 v[82:83], v[82:83], -v[151:152]
	v_add_f64 v[72:73], v[90:91], v[72:73]
	v_add_f64 v[58:59], v[157:158], v[145:146]
	v_add_f64 v[173:174], v[220:221], -v[173:174]
	v_mul_f64 v[153:154], v[153:154], s[20:21]
	v_add_f64 v[34:35], v[38:39], v[34:35]
	v_add_f64 v[32:33], v[36:37], v[32:33]
	;; [unrolled: 1-line block ×13, first 2 shown]
	v_fma_f64 v[88:89], v[177:178], s[34:35], v[214:215]
	v_fma_f64 v[98:99], v[177:178], s[20:21], v[214:215]
	;; [unrolled: 1-line block ×4, first 2 shown]
	v_mul_f64 v[242:243], v[171:172], s[24:25]
	v_mul_f64 v[244:245], v[179:180], s[24:25]
	v_add_f64 v[46:47], v[147:148], v[46:47]
	v_mul_f64 v[246:247], v[171:172], s[6:7]
	v_mul_f64 v[248:249], v[179:180], s[6:7]
	v_add_f64 v[30:31], v[34:35], v[30:31]
	v_add_f64 v[28:29], v[32:33], v[28:29]
	v_fma_f64 v[32:33], v[62:63], s[4:5], v[102:103]
	v_fma_f64 v[34:35], v[62:63], s[4:5], -v[102:103]
	v_add_f64 v[102:103], v[226:227], -v[109:110]
	v_add_f64 v[54:55], v[54:55], v[133:134]
	v_add_f64 v[38:39], v[38:39], v[115:116]
	;; [unrolled: 1-line block ×4, first 2 shown]
	v_add_f64 v[62:63], v[230:231], -v[119:120]
	v_add_f64 v[42:43], v[117:118], v[42:43]
	v_add_f64 v[76:77], v[125:126], v[76:77]
	;; [unrolled: 1-line block ×6, first 2 shown]
	v_add_f64 v[94:95], v[232:233], -v[104:105]
	v_mul_f64 v[74:75], v[179:180], s[18:19]
	v_mul_f64 v[179:180], v[179:180], s[4:5]
	v_add_f64 v[50:51], v[129:130], v[238:239]
	v_add_f64 v[90:91], v[236:237], -v[127:128]
	v_add_f64 v[52:53], v[52:53], v[58:59]
	v_add_f64 v[26:27], v[30:31], v[26:27]
	;; [unrolled: 1-line block ×4, first 2 shown]
	v_mul_f64 v[250:251], v[171:172], s[18:19]
	v_add_f64 v[44:45], v[44:45], -v[143:144]
	v_add_f64 v[54:55], v[175:176], v[54:55]
	v_add_f64 v[36:37], v[36:37], v[38:39]
	;; [unrolled: 1-line block ×7, first 2 shown]
	v_mul_f64 v[183:184], v[171:172], s[4:5]
	v_add_f64 v[30:31], v[240:241], -v[159:160]
	v_add_f64 v[58:59], v[173:174], v[80:81]
	v_fma_f64 v[100:101], v[84:85], s[10:11], v[216:217]
	v_fma_f64 v[84:85], v[84:85], s[30:31], v[216:217]
	v_add_f64 v[48:49], v[78:79], v[48:49]
	v_add_f64 v[8:9], v[60:61], v[8:9]
	;; [unrolled: 1-line block ×3, first 2 shown]
	v_fma_f64 v[109:110], v[171:172], s[16:17], v[153:154]
	v_add_f64 v[76:77], v[135:136], v[244:245]
	v_add_f64 v[22:23], v[26:27], v[22:23]
	;; [unrolled: 1-line block ×3, first 2 shown]
	v_add_f64 v[78:79], v[242:243], -v[131:132]
	v_add_f64 v[24:25], v[167:168], v[179:180]
	v_add_f64 v[26:27], v[155:156], v[74:75]
	;; [unrolled: 1-line block ×7, first 2 shown]
	v_add_f64 v[74:75], v[246:247], -v[137:138]
	v_add_f64 v[28:29], v[28:29], v[52:53]
	v_add_f64 v[38:39], v[50:51], v[38:39]
	v_add_f64 v[42:43], v[90:91], v[42:43]
	v_add_f64 v[62:63], v[250:251], -v[149:150]
	v_add_f64 v[44:45], v[44:45], v[56:57]
	v_add_f64 v[60:61], v[183:184], -v[165:166]
	v_add_f64 v[50:51], v[30:31], v[58:59]
	v_fma_f64 v[111:112], v[171:172], s[16:17], -v[153:154]
	v_add_f64 v[48:49], v[84:85], v[48:49]
	v_add_f64 v[52:53], v[34:35], v[8:9]
	;; [unrolled: 1-line block ×7, first 2 shown]
	v_mov_b32_e32 v36, 4
	v_add_f64 v[34:35], v[76:77], v[46:47]
	v_add_f64 v[32:33], v[78:79], v[40:41]
	;; [unrolled: 1-line block ×5, first 2 shown]
	v_lshlrev_b32_sdwa v36, v36, v191 dst_sel:DWORD dst_unused:UNUSED_PAD src0_sel:DWORD src1_sel:WORD_0
	v_add_f64 v[24:25], v[62:63], v[44:45]
	v_add_f64 v[20:21], v[60:61], v[50:51]
	;; [unrolled: 1-line block ×7, first 2 shown]
	ds_write_b128 v36, v[64:67] offset:112
	ds_write_b128 v36, v[68:71] offset:128
	ds_write_b128 v36, v[4:7] offset:144
	ds_write_b128 v36, v[32:35] offset:16
	ds_write_b128 v36, v[28:31] offset:32
	ds_write_b128 v36, v[24:27] offset:48
	ds_write_b128 v36, v[20:23] offset:64
	ds_write_b128 v36, v[16:19] offset:80
	ds_write_b128 v36, v[8:11] offset:96
	ds_write_b128 v36, v[12:15]
	ds_write_b128 v36, v[0:3] offset:160
.LBB0_7:
	s_or_b32 exec_lo, exec_lo, s33
	v_and_b32_e32 v8, 0xff, v190
	s_load_dwordx4 s[4:7], s[0:1], 0x0
	s_waitcnt lgkmcnt(0)
	s_barrier
	buffer_gl0_inv
	v_mul_lo_u16 v8, 0x75, v8
	s_mov_b32 s0, 0x37e14327
	s_mov_b32 s1, 0x3fe948f6
	;; [unrolled: 1-line block ×4, first 2 shown]
	v_lshrrev_b16 v8, 8, v8
	s_mov_b32 s9, 0x3fac98ee
	s_mov_b32 s11, 0xbfe11646
	;; [unrolled: 1-line block ×4, first 2 shown]
	v_sub_nc_u16 v9, v190, v8
	s_mov_b32 s19, 0x3fd5d0dc
	s_mov_b32 s18, 0xb247c609
	v_lshrrev_b16 v9, 1, v9
	v_and_b32_e32 v9, 0x7f, v9
	v_add_nc_u16 v8, v9, v8
	v_lshrrev_b16 v100, 3, v8
	v_mul_lo_u16 v8, v100, 11
	v_sub_nc_u16 v8, v190, v8
	v_and_b32_e32 v101, 0xff, v8
	v_mul_u32_u24_e32 v8, 6, v101
	v_lshlrev_b32_e32 v16, 4, v8
	s_clause 0x5
	global_load_dwordx4 v[12:15], v16, s[2:3]
	global_load_dwordx4 v[8:11], v16, s[2:3] offset:16
	global_load_dwordx4 v[20:23], v16, s[2:3] offset:80
	;; [unrolled: 1-line block ×5, first 2 shown]
	ds_read_b128 v[16:19], v189 offset:1584
	ds_read_b128 v[36:39], v189 offset:3168
	;; [unrolled: 1-line block ×6, first 2 shown]
	s_waitcnt vmcnt(5) lgkmcnt(5)
	v_mul_f64 v[56:57], v[18:19], v[14:15]
	v_mul_f64 v[58:59], v[16:17], v[14:15]
	s_waitcnt vmcnt(4) lgkmcnt(4)
	v_mul_f64 v[60:61], v[38:39], v[10:11]
	v_mul_f64 v[62:63], v[36:37], v[10:11]
	s_waitcnt vmcnt(3) lgkmcnt(3)
	v_mul_f64 v[72:73], v[42:43], v[22:23]
	v_mul_f64 v[74:75], v[40:41], v[22:23]
	s_waitcnt vmcnt(2) lgkmcnt(2)
	v_mul_f64 v[76:77], v[46:47], v[34:35]
	v_mul_f64 v[78:79], v[44:45], v[34:35]
	s_waitcnt vmcnt(1) lgkmcnt(1)
	v_mul_f64 v[80:81], v[50:51], v[30:31]
	v_mul_f64 v[82:83], v[48:49], v[30:31]
	s_waitcnt vmcnt(0) lgkmcnt(0)
	v_mul_f64 v[84:85], v[54:55], v[26:27]
	v_mul_f64 v[86:87], v[52:53], v[26:27]
	v_fma_f64 v[16:17], v[16:17], v[12:13], -v[56:57]
	v_fma_f64 v[18:19], v[18:19], v[12:13], v[58:59]
	v_fma_f64 v[36:37], v[36:37], v[8:9], -v[60:61]
	v_fma_f64 v[38:39], v[38:39], v[8:9], v[62:63]
	;; [unrolled: 2-line block ×6, first 2 shown]
	v_add_f64 v[56:57], v[16:17], v[40:41]
	v_add_f64 v[58:59], v[18:19], v[42:43]
	;; [unrolled: 1-line block ×4, first 2 shown]
	v_add_f64 v[36:37], v[36:37], -v[44:45]
	v_add_f64 v[38:39], v[38:39], -v[46:47]
	v_add_f64 v[72:73], v[48:49], v[52:53]
	v_add_f64 v[74:75], v[50:51], v[54:55]
	v_add_f64 v[44:45], v[52:53], -v[48:49]
	v_add_f64 v[46:47], v[54:55], -v[50:51]
	;; [unrolled: 1-line block ×4, first 2 shown]
	ds_read_b128 v[16:19], v189
	s_waitcnt lgkmcnt(0)
	s_barrier
	buffer_gl0_inv
	v_add_f64 v[48:49], v[60:61], v[56:57]
	v_add_f64 v[50:51], v[62:63], v[58:59]
	v_add_f64 v[52:53], v[56:57], -v[72:73]
	v_add_f64 v[54:55], v[58:59], -v[74:75]
	;; [unrolled: 1-line block ×10, first 2 shown]
	v_add_f64 v[36:37], v[44:45], v[36:37]
	v_add_f64 v[38:39], v[46:47], v[38:39]
	v_add_f64 v[44:45], v[40:41], -v[44:45]
	v_add_f64 v[46:47], v[42:43], -v[46:47]
	v_add_f64 v[48:49], v[72:73], v[48:49]
	v_add_f64 v[50:51], v[74:75], v[50:51]
	v_mul_f64 v[52:53], v[52:53], s[0:1]
	v_mul_f64 v[54:55], v[54:55], s[0:1]
	s_mov_b32 s0, 0x429ad128
	v_mul_f64 v[60:61], v[76:77], s[8:9]
	v_mul_f64 v[62:63], v[78:79], s[8:9]
	;; [unrolled: 1-line block ×4, first 2 shown]
	s_mov_b32 s1, 0x3febfeb5
	s_mov_b32 s10, 0xaaaaaaaa
	v_mul_f64 v[88:89], v[84:85], s[0:1]
	v_mul_f64 v[90:91], v[86:87], s[0:1]
	s_mov_b32 s11, 0xbff2aaaa
	v_add_f64 v[72:73], v[16:17], v[48:49]
	v_add_f64 v[74:75], v[18:19], v[50:51]
	;; [unrolled: 1-line block ×4, first 2 shown]
	v_fma_f64 v[36:37], v[76:77], s[8:9], v[52:53]
	v_fma_f64 v[38:39], v[78:79], s[8:9], v[54:55]
	v_fma_f64 v[40:41], v[56:57], s[16:17], -v[60:61]
	v_fma_f64 v[42:43], v[58:59], s[16:17], -v[62:63]
	s_mov_b32 s17, 0xbfe77f67
	v_fma_f64 v[60:61], v[44:45], s[18:19], v[80:81]
	v_fma_f64 v[62:63], v[46:47], s[18:19], v[82:83]
	s_mov_b32 s19, 0xbfd5d0dc
	v_fma_f64 v[76:77], v[84:85], s[0:1], -v[80:81]
	v_fma_f64 v[78:79], v[86:87], s[0:1], -v[82:83]
	;; [unrolled: 1-line block ×6, first 2 shown]
	s_mov_b32 s0, 0x37c3f68c
	s_mov_b32 s1, 0x3fdc38aa
	v_fma_f64 v[48:49], v[48:49], s[10:11], v[72:73]
	v_fma_f64 v[50:51], v[50:51], s[10:11], v[74:75]
	;; [unrolled: 1-line block ×8, first 2 shown]
	v_cmp_gt_u16_e64 s0, 0x4d, v190
	v_add_f64 v[36:37], v[36:37], v[48:49]
	v_add_f64 v[38:39], v[38:39], v[50:51]
	;; [unrolled: 1-line block ×7, first 2 shown]
	v_add_f64 v[86:87], v[38:39], -v[56:57]
	v_add_f64 v[88:89], v[18:19], v[44:45]
	v_add_f64 v[90:91], v[46:47], -v[16:17]
	v_add_f64 v[76:77], v[40:41], -v[62:63]
	v_add_f64 v[78:79], v[60:61], v[42:43]
	v_add_f64 v[92:93], v[62:63], v[40:41]
	v_add_f64 v[94:95], v[42:43], -v[60:61]
	v_add_f64 v[96:97], v[44:45], -v[18:19]
	v_add_f64 v[98:99], v[16:17], v[46:47]
	v_add_f64 v[80:81], v[36:37], -v[58:59]
	v_add_f64 v[82:83], v[56:57], v[38:39]
	v_mov_b32_e32 v16, 0x4d
	v_mul_u32_u24_sdwa v16, v100, v16 dst_sel:DWORD dst_unused:UNUSED_PAD src0_sel:WORD_0 src1_sel:DWORD
	v_add_lshl_u32 v192, v16, v101, 4
	ds_write_b128 v192, v[72:75]
	ds_write_b128 v192, v[84:87] offset:176
	ds_write_b128 v192, v[88:91] offset:352
	;; [unrolled: 1-line block ×6, first 2 shown]
	s_waitcnt lgkmcnt(0)
	s_barrier
	buffer_gl0_inv
	s_and_saveexec_b32 s1, s0
	s_cbranch_execz .LBB0_9
; %bb.8:
	ds_read_b128 v[72:75], v189
	ds_read_b128 v[84:87], v189 offset:1232
	ds_read_b128 v[88:91], v189 offset:2464
	ds_read_b128 v[76:79], v189 offset:3696
	ds_read_b128 v[92:95], v189 offset:4928
	ds_read_b128 v[96:99], v189 offset:6160
	ds_read_b128 v[80:83], v189 offset:7392
	ds_read_b128 v[64:67], v189 offset:8624
	ds_read_b128 v[68:71], v189 offset:9856
.LBB0_9:
	s_or_b32 exec_lo, exec_lo, s1
	v_lshlrev_b32_e32 v16, 3, v190
	s_mov_b32 s8, 0x8c811c17
	s_mov_b32 s10, 0xa2cf5039
	;; [unrolled: 1-line block ×4, first 2 shown]
	v_add_co_u32 v18, s1, 0xfffffd98, v16
	v_add_co_ci_u32_e64 v17, null, 0, -1, s1
	s_mov_b32 s16, 0x7e0b738b
	v_cndmask_b32_e64 v16, v18, v16, s0
	s_mov_b32 s17, 0x3fc63a1a
	v_cndmask_b32_e64 v17, v17, 0, s0
	v_lshlrev_b64 v[16:17], 4, v[16:17]
	v_add_co_u32 v40, s1, s2, v16
	v_add_co_ci_u32_e64 v41, s1, s3, v17, s1
	s_mov_b32 s3, 0x3fe491b7
	s_mov_b32 s2, 0x523c161c
	s_clause 0x7
	global_load_dwordx4 v[16:19], v[40:41], off offset:1056
	global_load_dwordx4 v[44:47], v[40:41], off offset:1168
	;; [unrolled: 1-line block ×8, first 2 shown]
	s_waitcnt vmcnt(7) lgkmcnt(7)
	v_mul_f64 v[100:101], v[86:87], v[18:19]
	v_mul_f64 v[102:103], v[84:85], v[18:19]
	s_waitcnt vmcnt(6) lgkmcnt(0)
	v_mul_f64 v[104:105], v[70:71], v[46:47]
	v_mul_f64 v[106:107], v[68:69], v[46:47]
	s_waitcnt vmcnt(5)
	v_mul_f64 v[109:110], v[94:95], v[50:51]
	v_mul_f64 v[111:112], v[92:93], v[50:51]
	s_waitcnt vmcnt(4)
	v_mul_f64 v[113:114], v[98:99], v[62:63]
	v_mul_f64 v[115:116], v[96:97], v[62:63]
	s_waitcnt vmcnt(3)
	v_mul_f64 v[117:118], v[90:91], v[54:55]
	s_waitcnt vmcnt(2)
	v_mul_f64 v[119:120], v[66:67], v[58:59]
	v_mul_f64 v[121:122], v[88:89], v[54:55]
	;; [unrolled: 1-line block ×3, first 2 shown]
	v_fma_f64 v[84:85], v[84:85], v[16:17], -v[100:101]
	v_fma_f64 v[86:87], v[86:87], v[16:17], v[102:103]
	v_fma_f64 v[68:69], v[68:69], v[44:45], -v[104:105]
	v_fma_f64 v[70:71], v[70:71], v[44:45], v[106:107]
	v_fma_f64 v[92:93], v[92:93], v[48:49], -v[109:110]
	v_fma_f64 v[94:95], v[94:95], v[48:49], v[111:112]
	v_fma_f64 v[96:97], v[96:97], v[60:61], -v[113:114]
	v_fma_f64 v[98:99], v[98:99], v[60:61], v[115:116]
	v_fma_f64 v[88:89], v[88:89], v[52:53], -v[117:118]
	v_fma_f64 v[64:65], v[64:65], v[56:57], -v[119:120]
	v_fma_f64 v[90:91], v[90:91], v[52:53], v[121:122]
	v_fma_f64 v[66:67], v[66:67], v[56:57], v[123:124]
	s_waitcnt vmcnt(1)
	v_mul_f64 v[100:101], v[78:79], v[38:39]
	v_mul_f64 v[102:103], v[76:77], v[38:39]
	s_waitcnt vmcnt(0)
	v_mul_f64 v[104:105], v[82:83], v[42:43]
	v_mul_f64 v[106:107], v[80:81], v[42:43]
	v_add_f64 v[109:110], v[84:85], -v[68:69]
	v_add_f64 v[111:112], v[86:87], -v[70:71]
	v_add_f64 v[68:69], v[84:85], v[68:69]
	v_add_f64 v[70:71], v[86:87], v[70:71]
	;; [unrolled: 1-line block ×4, first 2 shown]
	v_add_f64 v[113:114], v[92:93], -v[96:97]
	v_add_f64 v[115:116], v[94:95], -v[98:99]
	v_add_f64 v[117:118], v[88:89], v[64:65]
	v_add_f64 v[119:120], v[90:91], v[66:67]
	v_add_f64 v[64:65], v[88:89], -v[64:65]
	v_add_f64 v[66:67], v[90:91], -v[66:67]
	v_fma_f64 v[76:77], v[76:77], v[36:37], -v[100:101]
	v_fma_f64 v[78:79], v[78:79], v[36:37], v[102:103]
	v_fma_f64 v[80:81], v[80:81], v[40:41], -v[104:105]
	v_fma_f64 v[82:83], v[82:83], v[40:41], v[106:107]
	v_mul_f64 v[88:89], v[109:110], s[2:3]
	v_mul_f64 v[90:91], v[111:112], s[2:3]
	s_mov_b32 s3, 0xbfe491b7
	v_fma_f64 v[100:101], v[68:69], s[10:11], v[72:73]
	v_fma_f64 v[102:103], v[70:71], s[10:11], v[74:75]
	v_fma_f64 v[104:105], v[84:85], s[10:11], v[72:73]
	v_fma_f64 v[106:107], v[86:87], s[10:11], v[74:75]
	v_mul_f64 v[121:122], v[113:114], s[8:9]
	v_mul_f64 v[123:124], v[115:116], s[8:9]
	v_fma_f64 v[125:126], v[117:118], s[10:11], v[72:73]
	v_mul_f64 v[127:128], v[115:116], s[2:3]
	v_mul_f64 v[129:130], v[113:114], s[2:3]
	v_fma_f64 v[131:132], v[119:120], s[10:11], v[74:75]
	v_add_f64 v[137:138], v[117:118], v[68:69]
	v_add_f64 v[133:134], v[76:77], v[80:81]
	;; [unrolled: 1-line block ×4, first 2 shown]
	v_add_f64 v[76:77], v[76:77], -v[80:81]
	v_add_f64 v[78:79], v[78:79], -v[82:83]
	s_mov_b32 s10, 0xe8584cab
	s_mov_b32 s11, 0x3febb67a
	v_fma_f64 v[80:81], v[64:65], s[8:9], v[88:89]
	v_fma_f64 v[82:83], v[66:67], s[8:9], v[90:91]
	;; [unrolled: 1-line block ×6, first 2 shown]
	v_fma_f64 v[104:105], v[64:65], s[2:3], -v[121:122]
	v_fma_f64 v[106:107], v[66:67], s[2:3], -v[123:124]
	v_fma_f64 v[121:122], v[84:85], s[16:17], v[125:126]
	v_fma_f64 v[123:124], v[111:112], s[8:9], v[127:128]
	;; [unrolled: 1-line block ×4, first 2 shown]
	s_mov_b32 s3, 0xbfebb67a
	s_mov_b32 s2, s10
	v_add_f64 v[129:130], v[113:114], v[109:110]
	v_add_f64 v[131:132], v[115:116], v[111:112]
	v_add_f64 v[141:142], v[72:73], v[133:134]
	v_add_f64 v[143:144], v[74:75], v[135:136]
	v_add_f64 v[145:146], v[84:85], v[137:138]
	v_add_f64 v[147:148], v[86:87], v[139:140]
	v_add_f64 v[137:138], v[133:134], v[137:138]
	v_add_f64 v[139:140], v[135:136], v[139:140]
	v_fma_f64 v[80:81], v[76:77], s[10:11], v[80:81]
	v_fma_f64 v[82:83], v[78:79], s[10:11], v[82:83]
	v_fma_f64 v[88:89], v[133:134], -0.5, v[88:89]
	v_fma_f64 v[90:91], v[135:136], -0.5, v[90:91]
	;; [unrolled: 1-line block ×4, first 2 shown]
	v_fma_f64 v[104:105], v[76:77], s[10:11], v[104:105]
	v_fma_f64 v[106:107], v[78:79], s[10:11], v[106:107]
	v_fma_f64 v[121:122], v[133:134], -0.5, v[121:122]
	v_fma_f64 v[78:79], v[78:79], s[2:3], v[123:124]
	v_fma_f64 v[76:77], v[76:77], s[2:3], v[125:126]
	v_fma_f64 v[123:124], v[135:136], -0.5, v[127:128]
	s_mov_b32 s8, 0x748a0bf8
	s_mov_b32 s16, 0x42522d1b
	s_mov_b32 s9, 0x3fd5e3a8
	s_mov_b32 s17, 0xbfee11f6
	v_add_f64 v[125:126], v[129:130], -v[64:65]
	v_add_f64 v[127:128], v[131:132], -v[66:67]
	v_fma_f64 v[129:130], v[145:146], -0.5, v[141:142]
	v_fma_f64 v[131:132], v[147:148], -0.5, v[143:144]
	v_add_f64 v[92:93], v[92:93], v[137:138]
	v_add_f64 v[94:95], v[94:95], v[139:140]
	v_fma_f64 v[80:81], v[113:114], s[8:9], v[80:81]
	v_fma_f64 v[82:83], v[115:116], s[8:9], v[82:83]
	;; [unrolled: 1-line block ×12, first 2 shown]
	v_mul_f64 v[66:67], v[125:126], s[10:11]
	v_mul_f64 v[70:71], v[127:128], s[10:11]
	v_fma_f64 v[88:89], v[127:128], s[10:11], v[129:130]
	v_fma_f64 v[90:91], v[125:126], s[2:3], v[131:132]
	v_add_f64 v[113:114], v[96:97], v[92:93]
	v_add_f64 v[115:116], v[98:99], v[94:95]
	;; [unrolled: 1-line block ×3, first 2 shown]
	v_add_f64 v[98:99], v[86:87], -v[80:81]
	v_add_f64 v[84:85], v[106:107], v[68:69]
	v_add_f64 v[92:93], v[109:110], v[100:101]
	v_add_f64 v[94:95], v[102:103], -v[111:112]
	v_add_f64 v[86:87], v[64:65], -v[104:105]
	v_fma_f64 v[76:77], v[70:71], -2.0, v[88:89]
	v_fma_f64 v[78:79], v[66:67], 2.0, v[90:91]
	v_add_f64 v[64:65], v[72:73], v[113:114]
	v_add_f64 v[66:67], v[74:75], v[115:116]
	v_fma_f64 v[68:69], v[82:83], -2.0, v[96:97]
	v_fma_f64 v[70:71], v[80:81], 2.0, v[98:99]
	v_fma_f64 v[80:81], v[106:107], -2.0, v[84:85]
	v_fma_f64 v[72:73], v[109:110], -2.0, v[92:93]
	v_fma_f64 v[74:75], v[111:112], 2.0, v[94:95]
	v_fma_f64 v[82:83], v[104:105], 2.0, v[86:87]
	s_and_saveexec_b32 s1, s0
	s_cbranch_execz .LBB0_11
; %bb.10:
	ds_write_b128 v189, v[64:67]
	ds_write_b128 v189, v[96:99] offset:1232
	ds_write_b128 v189, v[92:95] offset:2464
	;; [unrolled: 1-line block ×8, first 2 shown]
.LBB0_11:
	s_or_b32 exec_lo, exec_lo, s1
	s_waitcnt lgkmcnt(0)
	s_barrier
	buffer_gl0_inv
	s_and_saveexec_b32 s2, vcc_lo
	s_cbranch_execz .LBB0_13
; %bb.12:
	v_add_co_u32 v133, s1, s14, v189
	v_add_co_ci_u32_e64 v134, null, s15, 0, s1
	v_add_co_u32 v100, s1, 0x2800, v133
	v_add_co_ci_u32_e64 v101, s1, 0, v134, s1
	v_add_co_u32 v109, s1, 0x2b50, v133
	v_add_co_ci_u32_e64 v110, s1, 0, v134, s1
	v_add_co_u32 v113, s1, 0x3000, v133
	v_add_co_ci_u32_e64 v114, s1, 0, v134, s1
	v_add_co_u32 v121, s1, 0x3800, v133
	v_add_co_ci_u32_e64 v122, s1, 0, v134, s1
	v_add_co_u32 v129, s1, 0x4000, v133
	global_load_dwordx4 v[100:103], v[100:101], off offset:848
	v_add_co_ci_u32_e64 v130, s1, 0, v134, s1
	v_add_co_u32 v137, s1, 0x4800, v133
	v_add_co_ci_u32_e64 v138, s1, 0, v134, s1
	v_add_co_u32 v141, s1, 0x5000, v133
	s_clause 0x6
	global_load_dwordx4 v[104:107], v[109:110], off offset:1008
	global_load_dwordx4 v[109:112], v[109:110], off offset:2016
	;; [unrolled: 1-line block ×7, first 2 shown]
	v_add_co_ci_u32_e64 v142, s1, 0, v134, s1
	s_clause 0x2
	global_load_dwordx4 v[133:136], v[137:138], off offset:720
	global_load_dwordx4 v[137:140], v[137:138], off offset:1728
	;; [unrolled: 1-line block ×3, first 2 shown]
	ds_read_b128 v[145:148], v189
	ds_read_b128 v[149:152], v189 offset:1008
	ds_read_b128 v[153:156], v189 offset:2016
	;; [unrolled: 1-line block ×10, first 2 shown]
	s_waitcnt vmcnt(10) lgkmcnt(10)
	v_mul_f64 v[193:194], v[147:148], v[102:103]
	v_mul_f64 v[102:103], v[145:146], v[102:103]
	s_waitcnt vmcnt(9) lgkmcnt(9)
	v_mul_f64 v[195:196], v[151:152], v[106:107]
	v_mul_f64 v[106:107], v[149:150], v[106:107]
	;; [unrolled: 3-line block ×11, first 2 shown]
	v_fma_f64 v[143:144], v[145:146], v[100:101], -v[193:194]
	v_fma_f64 v[145:146], v[147:148], v[100:101], v[102:103]
	v_fma_f64 v[100:101], v[149:150], v[104:105], -v[195:196]
	v_fma_f64 v[102:103], v[151:152], v[104:105], v[106:107]
	;; [unrolled: 2-line block ×11, first 2 shown]
	ds_write_b128 v189, v[143:146]
	ds_write_b128 v189, v[100:103] offset:1008
	ds_write_b128 v189, v[104:107] offset:2016
	;; [unrolled: 1-line block ×10, first 2 shown]
.LBB0_13:
	s_or_b32 exec_lo, exec_lo, s2
	s_waitcnt lgkmcnt(0)
	s_barrier
	buffer_gl0_inv
	s_and_saveexec_b32 s1, vcc_lo
	s_cbranch_execz .LBB0_15
; %bb.14:
	ds_read_b128 v[64:67], v189
	ds_read_b128 v[96:99], v189 offset:1008
	ds_read_b128 v[92:95], v189 offset:2016
	;; [unrolled: 1-line block ×10, first 2 shown]
.LBB0_15:
	s_or_b32 exec_lo, exec_lo, s1
	s_waitcnt lgkmcnt(0)
	v_add_f64 v[119:120], v[98:99], -v[2:3]
	v_add_f64 v[111:112], v[98:99], v[2:3]
	s_mov_b32 s2, 0x640f44db
	s_mov_b32 s16, 0x43842ef
	;; [unrolled: 1-line block ×8, first 2 shown]
	v_add_f64 v[109:110], v[96:97], v[0:1]
	v_add_f64 v[123:124], v[96:97], -v[0:1]
	v_add_f64 v[125:126], v[94:95], -v[6:7]
	v_add_f64 v[113:114], v[94:95], v[6:7]
	s_mov_b32 s10, 0x9bcd5057
	s_mov_b32 s24, 0xfd768dbf
	;; [unrolled: 1-line block ×6, first 2 shown]
	v_add_f64 v[115:116], v[92:93], v[4:5]
	v_add_f64 v[129:130], v[92:93], -v[4:5]
	v_mul_f64 v[151:152], v[119:120], s[16:17]
	v_mul_f64 v[153:154], v[111:112], s[2:3]
	;; [unrolled: 1-line block ×4, first 2 shown]
	v_add_f64 v[133:134], v[90:91], -v[70:71]
	v_add_f64 v[121:122], v[90:91], v[70:71]
	s_mov_b32 s26, 0xd9c712b6
	s_mov_b32 s20, 0x8764f0ba
	;; [unrolled: 1-line block ×6, first 2 shown]
	v_mul_f64 v[157:158], v[125:126], s[24:25]
	v_mul_f64 v[159:160], v[113:114], s[10:11]
	;; [unrolled: 1-line block ×4, first 2 shown]
	s_mov_b32 s35, 0xbfe14ced
	v_add_f64 v[117:118], v[88:89], v[68:69]
	v_add_f64 v[137:138], v[88:89], -v[68:69]
	v_add_f64 v[127:128], v[86:87], v[74:75]
	v_add_f64 v[141:142], v[86:87], -v[74:75]
	s_mov_b32 s28, s24
	v_fma_f64 v[100:101], v[109:110], s[2:3], -v[151:152]
	v_fma_f64 v[102:103], v[123:124], s[16:17], v[153:154]
	v_fma_f64 v[104:105], v[109:110], s[8:9], -v[185:186]
	v_fma_f64 v[106:107], v[123:124], s[18:19], v[187:188]
	v_mul_f64 v[161:162], v[133:134], s[30:31]
	v_mul_f64 v[163:164], v[121:122], s[26:27]
	;; [unrolled: 1-line block ×4, first 2 shown]
	v_add_f64 v[135:136], v[84:85], v[72:73]
	v_add_f64 v[149:150], v[84:85], -v[72:73]
	v_add_f64 v[131:132], v[82:83], v[78:79]
	v_add_f64 v[145:146], v[82:83], -v[78:79]
	v_fma_f64 v[139:140], v[115:116], s[10:11], -v[157:158]
	v_fma_f64 v[143:144], v[129:130], s[24:25], v[159:160]
	v_fma_f64 v[147:148], v[115:116], s[2:3], -v[169:170]
	v_fma_f64 v[155:156], v[129:130], s[22:23], v[171:172]
	s_barrier
	buffer_gl0_inv
	v_mul_f64 v[167:168], v[127:128], s[20:21]
	v_mul_f64 v[165:166], v[141:142], s[34:35]
	;; [unrolled: 1-line block ×3, first 2 shown]
	v_add_f64 v[100:101], v[64:65], v[100:101]
	v_add_f64 v[102:103], v[66:67], v[102:103]
	;; [unrolled: 1-line block ×4, first 2 shown]
	v_mul_f64 v[183:184], v[127:128], s[10:11]
	v_fma_f64 v[193:194], v[117:118], s[26:27], -v[161:162]
	v_fma_f64 v[195:196], v[137:138], s[30:31], v[163:164]
	v_fma_f64 v[197:198], v[117:118], s[20:21], -v[173:174]
	v_fma_f64 v[199:200], v[137:138], s[34:35], v[175:176]
	v_mul_f64 v[181:182], v[131:132], s[26:27]
	v_mul_f64 v[177:178], v[145:146], s[30:31]
	v_fma_f64 v[203:204], v[149:150], s[34:35], v[167:168]
	v_fma_f64 v[201:202], v[135:136], s[20:21], -v[165:166]
	v_fma_f64 v[205:206], v[135:136], s[10:11], -v[179:180]
	v_add_f64 v[100:101], v[139:140], v[100:101]
	v_add_f64 v[102:103], v[143:144], v[102:103]
	;; [unrolled: 1-line block ×5, first 2 shown]
	v_add_f64 v[155:156], v[80:81], -v[76:77]
	v_mul_f64 v[143:144], v[145:146], s[18:19]
	v_mul_f64 v[147:148], v[131:132], s[8:9]
	v_fma_f64 v[207:208], v[149:150], s[28:29], v[183:184]
	v_add_f64 v[100:101], v[193:194], v[100:101]
	v_add_f64 v[102:103], v[195:196], v[102:103]
	;; [unrolled: 1-line block ×4, first 2 shown]
	v_fma_f64 v[197:198], v[139:140], s[26:27], -v[177:178]
	v_fma_f64 v[199:200], v[155:156], s[30:31], v[181:182]
	v_fma_f64 v[193:194], v[139:140], s[8:9], -v[143:144]
	v_fma_f64 v[195:196], v[155:156], s[18:19], v[147:148]
	v_add_f64 v[100:101], v[201:202], v[100:101]
	v_add_f64 v[102:103], v[203:204], v[102:103]
	;; [unrolled: 1-line block ×8, first 2 shown]
	s_and_saveexec_b32 s1, vcc_lo
	s_cbranch_execz .LBB0_17
; %bb.16:
	v_mul_f64 v[199:200], v[109:110], s[8:9]
	v_add_f64 v[98:99], v[66:67], v[98:99]
	v_add_f64 v[96:97], v[64:65], v[96:97]
	v_mul_f64 v[193:194], v[123:124], s[28:29]
	v_mul_f64 v[195:196], v[119:120], s[28:29]
	v_mul_f64 v[197:198], v[123:124], s[18:19]
	v_mul_f64 v[209:210], v[115:116], s[2:3]
	s_mov_b32 s36, s34
	v_mul_f64 v[201:202], v[109:110], s[2:3]
	v_mul_f64 v[203:204], v[123:124], s[16:17]
	;; [unrolled: 1-line block ×14, first 2 shown]
	v_add_f64 v[185:186], v[199:200], v[185:186]
	v_add_f64 v[94:95], v[98:99], v[94:95]
	;; [unrolled: 1-line block ×3, first 2 shown]
	v_fma_f64 v[225:226], v[111:112], s[10:11], v[193:194]
	v_fma_f64 v[227:228], v[109:110], s[10:11], -v[195:196]
	v_fma_f64 v[193:194], v[111:112], s[10:11], -v[193:194]
	v_fma_f64 v[195:196], v[109:110], s[10:11], v[195:196]
	v_add_f64 v[187:188], v[187:188], -v[197:198]
	v_add_f64 v[169:170], v[209:210], v[169:170]
	v_add_f64 v[153:154], v[153:154], -v[203:204]
	v_add_f64 v[171:172], v[171:172], -v[211:212]
	v_fma_f64 v[209:210], v[113:114], s[20:21], v[217:218]
	v_fma_f64 v[211:212], v[115:116], s[20:21], -v[219:220]
	v_fma_f64 v[217:218], v[113:114], s[20:21], -v[217:218]
	v_fma_f64 v[219:220], v[115:116], s[20:21], v[219:220]
	v_add_f64 v[151:152], v[201:202], v[151:152]
	v_add_f64 v[173:174], v[221:222], v[173:174]
	v_mul_f64 v[96:97], v[149:150], s[30:31]
	v_mul_f64 v[247:248], v[141:142], s[30:31]
	s_mov_b32 s31, 0xbfed1bb4
	v_mul_f64 v[213:214], v[117:118], s[26:27]
	v_mul_f64 v[231:232], v[149:150], s[28:29]
	v_add_f64 v[185:186], v[64:65], v[185:186]
	v_add_f64 v[90:91], v[94:95], v[90:91]
	;; [unrolled: 1-line block ×3, first 2 shown]
	v_mul_f64 v[241:242], v[139:140], s[26:27]
	v_fma_f64 v[249:250], v[121:122], s[8:9], v[237:238]
	v_add_f64 v[193:194], v[66:67], v[193:194]
	v_add_f64 v[195:196], v[64:65], v[195:196]
	;; [unrolled: 1-line block ×3, first 2 shown]
	v_fma_f64 v[203:204], v[117:118], s[8:9], -v[239:240]
	v_fma_f64 v[237:238], v[121:122], s[8:9], -v[237:238]
	v_fma_f64 v[239:240], v[117:118], s[8:9], v[239:240]
	v_add_f64 v[175:176], v[175:176], -v[223:224]
	v_mul_f64 v[92:93], v[123:124], s[30:31]
	v_add_f64 v[159:160], v[159:160], -v[207:208]
	v_add_f64 v[153:154], v[66:67], v[153:154]
	v_add_f64 v[157:158], v[205:206], v[157:158]
	;; [unrolled: 1-line block ×4, first 2 shown]
	v_mul_f64 v[123:124], v[123:124], s[34:35]
	v_mul_f64 v[197:198], v[135:136], s[20:21]
	v_fma_f64 v[94:95], v[127:128], s[26:27], v[96:97]
	v_fma_f64 v[96:97], v[127:128], s[26:27], -v[96:97]
	v_add_f64 v[169:170], v[169:170], v[185:186]
	v_add_f64 v[86:87], v[90:91], v[86:87]
	;; [unrolled: 1-line block ×3, first 2 shown]
	v_mul_f64 v[185:186], v[129:130], s[18:19]
	v_fma_f64 v[207:208], v[135:136], s[26:27], v[247:248]
	v_add_f64 v[193:194], v[217:218], v[193:194]
	v_add_f64 v[195:196], v[219:220], v[195:196]
	;; [unrolled: 1-line block ×3, first 2 shown]
	v_mul_f64 v[187:188], v[125:126], s[18:19]
	v_add_f64 v[183:184], v[183:184], -v[231:232]
	v_add_f64 v[163:164], v[163:164], -v[215:216]
	v_add_f64 v[161:162], v[213:214], v[161:162]
	v_mul_f64 v[129:130], v[129:130], s[30:31]
	v_mul_f64 v[125:126], v[125:126], s[30:31]
	v_add_f64 v[153:154], v[159:160], v[153:154]
	v_add_f64 v[225:226], v[66:67], v[225:226]
	;; [unrolled: 1-line block ×4, first 2 shown]
	v_fma_f64 v[177:178], v[111:112], s[26:27], -v[92:93]
	v_fma_f64 v[92:93], v[111:112], s[26:27], v[92:93]
	v_add_f64 v[227:228], v[64:65], v[227:228]
	v_mul_f64 v[199:200], v[149:150], s[34:35]
	v_add_f64 v[169:170], v[173:174], v[169:170]
	v_mul_f64 v[173:174], v[119:120], s[34:35]
	v_mul_f64 v[119:120], v[119:120], s[30:31]
	v_add_f64 v[82:83], v[86:87], v[82:83]
	v_add_f64 v[80:81], v[84:85], v[80:81]
	;; [unrolled: 1-line block ×5, first 2 shown]
	v_mul_f64 v[98:99], v[145:146], s[16:17]
	v_mul_f64 v[233:234], v[139:140], s[8:9]
	;; [unrolled: 1-line block ×4, first 2 shown]
	v_add_f64 v[159:160], v[181:182], -v[243:244]
	v_add_f64 v[153:154], v[163:164], v[153:154]
	v_add_f64 v[163:164], v[197:198], v[165:166]
	v_fma_f64 v[165:166], v[113:114], s[8:9], -v[185:186]
	v_add_f64 v[201:202], v[209:210], v[225:226]
	v_add_f64 v[209:210], v[211:212], v[227:228]
	v_add_f64 v[167:168], v[167:168], -v[199:200]
	v_add_f64 v[169:170], v[179:180], v[169:170]
	v_fma_f64 v[179:180], v[111:112], s[20:21], -v[123:124]
	v_fma_f64 v[84:85], v[109:110], s[20:21], v[173:174]
	v_fma_f64 v[86:87], v[109:110], s[26:27], v[119:120]
	v_fma_f64 v[119:120], v[109:110], s[26:27], -v[119:120]
	v_fma_f64 v[111:112], v[111:112], s[20:21], v[123:124]
	v_fma_f64 v[109:110], v[109:110], s[20:21], -v[173:174]
	v_add_f64 v[78:79], v[82:83], v[78:79]
	v_add_f64 v[76:77], v[80:81], v[76:77]
	;; [unrolled: 1-line block ×6, first 2 shown]
	v_mul_f64 v[151:152], v[137:138], s[24:25]
	v_mul_f64 v[161:162], v[133:134], s[24:25]
	v_add_f64 v[173:174], v[66:67], v[177:178]
	v_mul_f64 v[137:138], v[137:138], s[16:17]
	v_mul_f64 v[133:134], v[133:134], s[16:17]
	v_fma_f64 v[183:184], v[113:114], s[26:27], -v[129:130]
	v_fma_f64 v[195:196], v[115:116], s[26:27], v[125:126]
	v_fma_f64 v[177:178], v[115:116], s[8:9], v[187:188]
	v_fma_f64 v[211:212], v[135:136], s[26:27], -v[247:248]
	v_add_f64 v[201:202], v[249:250], v[201:202]
	v_add_f64 v[179:180], v[66:67], v[179:180]
	;; [unrolled: 1-line block ×4, first 2 shown]
	v_fma_f64 v[84:85], v[113:114], s[8:9], v[185:186]
	v_add_f64 v[86:87], v[66:67], v[92:93]
	v_fma_f64 v[92:93], v[115:116], s[8:9], -v[187:188]
	v_add_f64 v[119:120], v[64:65], v[119:120]
	v_fma_f64 v[113:114], v[113:114], s[26:27], v[129:130]
	v_add_f64 v[66:67], v[66:67], v[111:112]
	v_fma_f64 v[111:112], v[115:116], s[26:27], -v[125:126]
	v_add_f64 v[64:65], v[64:65], v[109:110]
	v_add_f64 v[74:75], v[78:79], v[74:75]
	;; [unrolled: 1-line block ×3, first 2 shown]
	v_mul_f64 v[109:110], v[149:150], s[22:23]
	v_mul_f64 v[115:116], v[141:142], s[22:23]
	v_fma_f64 v[125:126], v[121:122], s[10:11], -v[151:152]
	v_add_f64 v[129:130], v[165:166], v[173:174]
	v_mul_f64 v[149:150], v[149:150], s[18:19]
	v_mul_f64 v[141:142], v[141:142], s[18:19]
	v_fma_f64 v[173:174], v[121:122], s[2:3], -v[137:138]
	v_fma_f64 v[165:166], v[117:118], s[10:11], v[161:162]
	v_add_f64 v[203:204], v[203:204], v[209:210]
	v_add_f64 v[179:180], v[183:184], v[179:180]
	v_fma_f64 v[183:184], v[117:118], s[2:3], v[133:134]
	v_add_f64 v[76:77], v[195:196], v[80:81]
	v_add_f64 v[78:79], v[177:178], v[82:83]
	v_fma_f64 v[80:81], v[121:122], s[10:11], v[151:152]
	v_add_f64 v[82:83], v[84:85], v[86:87]
	v_fma_f64 v[84:85], v[117:118], s[10:11], -v[161:162]
	v_add_f64 v[86:87], v[92:93], v[119:120]
	v_fma_f64 v[92:93], v[121:122], s[2:3], v[137:138]
	v_add_f64 v[66:67], v[113:114], v[66:67]
	v_fma_f64 v[113:114], v[117:118], s[2:3], -v[133:134]
	v_add_f64 v[64:65], v[111:112], v[64:65]
	v_add_f64 v[70:71], v[74:75], v[70:71]
	;; [unrolled: 1-line block ×3, first 2 shown]
	v_mul_f64 v[117:118], v[145:146], s[36:37]
	v_mul_f64 v[133:134], v[145:146], s[28:29]
	v_add_f64 v[121:122], v[125:126], v[129:130]
	v_mul_f64 v[129:130], v[155:156], s[28:29]
	v_fma_f64 v[137:138], v[127:128], s[8:9], -v[149:150]
	v_fma_f64 v[151:152], v[135:136], s[8:9], v[141:142]
	v_mul_f64 v[111:112], v[155:156], s[36:37]
	v_fma_f64 v[119:120], v[127:128], s[2:3], -v[109:110]
	v_add_f64 v[145:146], v[173:174], v[179:180]
	v_fma_f64 v[125:126], v[135:136], s[2:3], v[115:116]
	v_add_f64 v[72:73], v[183:184], v[76:77]
	v_add_f64 v[74:75], v[165:166], v[78:79]
	v_fma_f64 v[76:77], v[127:128], s[2:3], v[109:110]
	v_add_f64 v[78:79], v[80:81], v[82:83]
	v_fma_f64 v[80:81], v[135:136], s[2:3], -v[115:116]
	v_add_f64 v[82:83], v[84:85], v[86:87]
	v_fma_f64 v[84:85], v[127:128], s[8:9], v[149:150]
	v_add_f64 v[66:67], v[92:93], v[66:67]
	v_fma_f64 v[86:87], v[135:136], s[8:9], -v[141:142]
	v_add_f64 v[64:65], v[113:114], v[64:65]
	v_add_f64 v[6:7], v[70:71], v[6:7]
	;; [unrolled: 1-line block ×4, first 2 shown]
	v_add_f64 v[92:93], v[147:148], -v[235:236]
	v_add_f64 v[109:110], v[167:168], v[153:154]
	v_fma_f64 v[127:128], v[131:132], s[10:11], -v[129:130]
	v_add_f64 v[113:114], v[233:234], v[143:144]
	v_fma_f64 v[90:91], v[139:140], s[2:3], -v[98:99]
	v_fma_f64 v[123:124], v[131:132], s[20:21], -v[111:112]
	v_add_f64 v[119:120], v[119:120], v[121:122]
	v_add_f64 v[135:136], v[137:138], v[145:146]
	v_fma_f64 v[137:138], v[139:140], s[10:11], v[133:134]
	v_add_f64 v[72:73], v[151:152], v[72:73]
	v_fma_f64 v[121:122], v[139:140], s[20:21], v[117:118]
	v_add_f64 v[125:126], v[125:126], v[74:75]
	v_fma_f64 v[175:176], v[131:132], s[2:3], -v[245:246]
	v_fma_f64 v[98:99], v[139:140], s[2:3], v[98:99]
	v_fma_f64 v[88:89], v[131:132], s[2:3], v[245:246]
	v_add_f64 v[94:95], v[94:95], v[201:202]
	v_add_f64 v[181:182], v[211:212], v[203:204]
	v_fma_f64 v[111:112], v[131:132], s[20:21], v[111:112]
	v_add_f64 v[141:142], v[76:77], v[78:79]
	v_fma_f64 v[117:118], v[139:140], s[20:21], -v[117:118]
	v_add_f64 v[143:144], v[80:81], v[82:83]
	v_fma_f64 v[129:130], v[131:132], s[10:11], v[129:130]
	v_add_f64 v[131:132], v[84:85], v[66:67]
	v_fma_f64 v[133:134], v[139:140], s[10:11], -v[133:134]
	v_add_f64 v[139:140], v[86:87], v[64:65]
	v_add_f64 v[86:87], v[6:7], v[2:3]
	;; [unrolled: 1-line block ×15, first 2 shown]
	v_mov_b32_e32 v0, 4
	v_add_f64 v[90:91], v[111:112], v[141:142]
	v_add_f64 v[88:89], v[117:118], v[143:144]
	;; [unrolled: 1-line block ×3, first 2 shown]
	v_lshlrev_b32_sdwa v0, v0, v191 dst_sel:DWORD dst_unused:UNUSED_PAD src0_sel:DWORD src1_sel:WORD_0
	v_add_f64 v[92:93], v[133:134], v[139:140]
	ds_write_b128 v0, v[84:87]
	ds_write_b128 v0, v[80:83] offset:16
	ds_write_b128 v0, v[76:79] offset:32
	;; [unrolled: 1-line block ×10, first 2 shown]
.LBB0_17:
	s_or_b32 exec_lo, exec_lo, s1
	s_waitcnt lgkmcnt(0)
	s_barrier
	buffer_gl0_inv
	ds_read_b128 v[0:3], v189 offset:1584
	ds_read_b128 v[4:7], v189 offset:3168
	;; [unrolled: 1-line block ×6, first 2 shown]
	s_mov_b32 s2, 0x37e14327
	s_mov_b32 s3, 0x3fe948f6
	;; [unrolled: 1-line block ×10, first 2 shown]
	s_waitcnt lgkmcnt(5)
	v_mul_f64 v[80:81], v[14:15], v[2:3]
	v_mul_f64 v[14:15], v[14:15], v[0:1]
	s_waitcnt lgkmcnt(4)
	v_mul_f64 v[82:83], v[10:11], v[6:7]
	v_mul_f64 v[10:11], v[10:11], v[4:5]
	;; [unrolled: 3-line block ×6, first 2 shown]
	v_fma_f64 v[0:1], v[12:13], v[0:1], v[80:81]
	v_fma_f64 v[2:3], v[12:13], v[2:3], -v[14:15]
	v_fma_f64 v[4:5], v[8:9], v[4:5], v[82:83]
	v_fma_f64 v[6:7], v[8:9], v[6:7], -v[10:11]
	;; [unrolled: 2-line block ×6, first 2 shown]
	v_add_f64 v[26:27], v[0:1], v[8:9]
	v_add_f64 v[30:31], v[2:3], v[10:11]
	v_add_f64 v[32:33], v[4:5], v[12:13]
	v_add_f64 v[34:35], v[6:7], v[14:15]
	v_add_f64 v[4:5], v[4:5], -v[12:13]
	v_add_f64 v[6:7], v[6:7], -v[14:15]
	v_add_f64 v[64:65], v[20:21], v[28:29]
	v_add_f64 v[66:67], v[22:23], v[24:25]
	v_add_f64 v[12:13], v[28:29], -v[20:21]
	v_add_f64 v[14:15], v[24:25], -v[22:23]
	;; [unrolled: 1-line block ×4, first 2 shown]
	ds_read_b128 v[0:3], v189
	s_waitcnt lgkmcnt(0)
	s_barrier
	buffer_gl0_inv
	v_add_f64 v[20:21], v[32:33], v[26:27]
	v_add_f64 v[22:23], v[34:35], v[30:31]
	v_add_f64 v[24:25], v[26:27], -v[64:65]
	v_add_f64 v[28:29], v[30:31], -v[66:67]
	v_add_f64 v[68:69], v[64:65], -v[32:33]
	v_add_f64 v[70:71], v[66:67], -v[34:35]
	v_add_f64 v[72:73], v[12:13], -v[4:5]
	v_add_f64 v[74:75], v[14:15], -v[6:7]
	v_add_f64 v[76:77], v[4:5], -v[8:9]
	v_add_f64 v[78:79], v[6:7], -v[10:11]
	v_add_f64 v[26:27], v[32:33], -v[26:27]
	v_add_f64 v[30:31], v[34:35], -v[30:31]
	v_add_f64 v[4:5], v[12:13], v[4:5]
	v_add_f64 v[6:7], v[14:15], v[6:7]
	v_add_f64 v[12:13], v[8:9], -v[12:13]
	v_add_f64 v[14:15], v[10:11], -v[14:15]
	v_add_f64 v[20:21], v[64:65], v[20:21]
	v_add_f64 v[22:23], v[66:67], v[22:23]
	v_mul_f64 v[24:25], v[24:25], s[2:3]
	v_mul_f64 v[28:29], v[28:29], s[2:3]
	s_mov_b32 s2, 0x429ad128
	v_mul_f64 v[32:33], v[68:69], s[8:9]
	v_mul_f64 v[34:35], v[70:71], s[8:9]
	;; [unrolled: 1-line block ×4, first 2 shown]
	s_mov_b32 s3, 0xbfebfeb5
	s_mov_b32 s10, 0xaaaaaaaa
	v_mul_f64 v[72:73], v[76:77], s[2:3]
	v_mul_f64 v[74:75], v[78:79], s[2:3]
	s_mov_b32 s11, 0xbff2aaaa
	v_add_f64 v[4:5], v[4:5], v[8:9]
	v_add_f64 v[6:7], v[6:7], v[10:11]
	;; [unrolled: 1-line block ×4, first 2 shown]
	v_fma_f64 v[8:9], v[68:69], s[8:9], v[24:25]
	v_fma_f64 v[10:11], v[70:71], s[8:9], v[28:29]
	v_fma_f64 v[32:33], v[26:27], s[16:17], -v[32:33]
	v_fma_f64 v[34:35], v[30:31], s[16:17], -v[34:35]
	s_mov_b32 s17, 0xbfe77f67
	v_fma_f64 v[68:69], v[12:13], s[18:19], v[64:65]
	v_fma_f64 v[70:71], v[14:15], s[18:19], v[66:67]
	s_mov_b32 s19, 0x3fd5d0dc
	v_fma_f64 v[64:65], v[76:77], s[2:3], -v[64:65]
	v_fma_f64 v[66:67], v[78:79], s[2:3], -v[66:67]
	;; [unrolled: 1-line block ×6, first 2 shown]
	s_mov_b32 s2, 0x37c3f68c
	s_mov_b32 s3, 0xbfdc38aa
	v_fma_f64 v[20:21], v[20:21], s[10:11], v[0:1]
	v_fma_f64 v[22:23], v[22:23], s[10:11], v[2:3]
	;; [unrolled: 1-line block ×8, first 2 shown]
	v_add_f64 v[72:73], v[8:9], v[20:21]
	v_add_f64 v[74:75], v[10:11], v[22:23]
	;; [unrolled: 1-line block ×7, first 2 shown]
	v_add_f64 v[6:7], v[74:75], -v[68:69]
	v_add_f64 v[12:13], v[66:67], v[76:77]
	v_add_f64 v[14:15], v[78:79], -v[64:65]
	v_add_f64 v[8:9], v[20:21], -v[30:31]
	v_add_f64 v[10:11], v[28:29], v[22:23]
	v_add_f64 v[24:25], v[30:31], v[20:21]
	v_add_f64 v[26:27], v[22:23], -v[28:29]
	v_add_f64 v[28:29], v[76:77], -v[66:67]
	v_add_f64 v[30:31], v[64:65], v[78:79]
	v_add_f64 v[20:21], v[72:73], -v[70:71]
	v_add_f64 v[22:23], v[68:69], v[74:75]
	ds_write_b128 v192, v[0:3]
	ds_write_b128 v192, v[4:7] offset:176
	ds_write_b128 v192, v[12:15] offset:352
	;; [unrolled: 1-line block ×6, first 2 shown]
	s_waitcnt lgkmcnt(0)
	s_barrier
	buffer_gl0_inv
	s_and_saveexec_b32 s1, s0
	s_cbranch_execz .LBB0_19
; %bb.18:
	ds_read_b128 v[0:3], v189
	ds_read_b128 v[4:7], v189 offset:1232
	ds_read_b128 v[12:15], v189 offset:2464
	;; [unrolled: 1-line block ×8, first 2 shown]
.LBB0_19:
	s_or_b32 exec_lo, exec_lo, s1
	s_and_saveexec_b32 s8, s0
	s_cbranch_execz .LBB0_21
; %bb.20:
	s_waitcnt lgkmcnt(4)
	v_mul_f64 v[32:33], v[50:51], v[26:27]
	s_waitcnt lgkmcnt(3)
	v_mul_f64 v[34:35], v[62:63], v[30:31]
	v_mul_f64 v[62:63], v[62:63], v[28:29]
	;; [unrolled: 1-line block ×4, first 2 shown]
	s_waitcnt lgkmcnt(1)
	v_mul_f64 v[66:67], v[58:59], v[104:105]
	v_mul_f64 v[54:55], v[54:55], v[12:13]
	;; [unrolled: 1-line block ×3, first 2 shown]
	s_waitcnt lgkmcnt(0)
	v_mul_f64 v[68:69], v[46:47], v[100:101]
	v_mul_f64 v[70:71], v[18:19], v[4:5]
	;; [unrolled: 1-line block ×3, first 2 shown]
	s_mov_b32 s0, 0x8c811c17
	s_mov_b32 s1, 0x3fef838b
	;; [unrolled: 1-line block ×8, first 2 shown]
	v_fma_f64 v[24:25], v[48:49], v[24:25], v[32:33]
	v_fma_f64 v[28:29], v[60:61], v[28:29], v[34:35]
	v_fma_f64 v[30:31], v[60:61], v[30:31], -v[62:63]
	v_fma_f64 v[26:27], v[48:49], v[26:27], -v[50:51]
	v_mul_f64 v[32:33], v[46:47], v[102:103]
	v_fma_f64 v[12:13], v[52:53], v[12:13], v[64:65]
	v_fma_f64 v[34:35], v[56:57], v[106:107], -v[66:67]
	v_fma_f64 v[14:15], v[52:53], v[14:15], -v[54:55]
	v_fma_f64 v[46:47], v[56:57], v[104:105], v[58:59]
	v_fma_f64 v[48:49], v[44:45], v[102:103], -v[68:69]
	v_fma_f64 v[6:7], v[16:17], v[6:7], -v[70:71]
	v_fma_f64 v[4:5], v[16:17], v[4:5], v[18:19]
	v_mul_f64 v[18:19], v[38:39], v[10:11]
	v_mul_f64 v[38:39], v[38:39], v[8:9]
	v_add_f64 v[50:51], v[24:25], -v[28:29]
	v_add_f64 v[56:57], v[24:25], v[28:29]
	v_add_f64 v[52:53], v[26:27], -v[30:31]
	v_fma_f64 v[16:17], v[44:45], v[100:101], v[32:33]
	v_mul_f64 v[32:33], v[42:43], v[20:21]
	v_mul_f64 v[42:43], v[42:43], v[22:23]
	v_add_f64 v[44:45], v[14:15], v[34:35]
	v_add_f64 v[54:55], v[12:13], v[46:47]
	v_add_f64 v[12:13], v[12:13], -v[46:47]
	v_add_f64 v[14:15], v[14:15], -v[34:35]
	v_add_f64 v[46:47], v[26:27], v[30:31]
	v_add_f64 v[58:59], v[6:7], v[48:49]
	v_add_f64 v[6:7], v[6:7], -v[48:49]
	v_fma_f64 v[8:9], v[36:37], v[8:9], v[18:19]
	v_fma_f64 v[10:11], v[36:37], v[10:11], -v[38:39]
	v_mul_f64 v[34:35], v[50:51], s[0:1]
	v_fma_f64 v[38:39], v[56:57], s[10:11], v[0:1]
	v_mul_f64 v[60:61], v[52:53], s[0:1]
	v_add_f64 v[62:63], v[4:5], v[16:17]
	v_add_f64 v[4:5], v[4:5], -v[16:17]
	v_fma_f64 v[16:17], v[40:41], v[22:23], -v[32:33]
	v_fma_f64 v[18:19], v[40:41], v[20:21], v[42:43]
	v_fma_f64 v[20:21], v[44:45], s[10:11], v[2:3]
	;; [unrolled: 1-line block ×3, first 2 shown]
	v_mul_f64 v[32:33], v[50:51], s[2:3]
	v_mul_f64 v[40:41], v[52:53], s[2:3]
	v_fma_f64 v[36:37], v[46:47], s[10:11], v[2:3]
	v_fma_f64 v[42:43], v[58:59], s[10:11], v[2:3]
	v_add_f64 v[72:73], v[44:45], v[58:59]
	v_add_f64 v[78:79], v[52:53], v[6:7]
	v_fma_f64 v[34:35], v[12:13], s[2:3], -v[34:35]
	v_fma_f64 v[48:49], v[14:15], s[2:3], -v[60:61]
	s_mov_b32 s3, 0x3fe491b7
	v_fma_f64 v[60:61], v[62:63], s[10:11], v[0:1]
	v_mul_f64 v[64:65], v[4:5], s[2:3]
	v_mul_f64 v[66:67], v[6:7], s[2:3]
	v_add_f64 v[68:69], v[10:11], v[16:17]
	v_add_f64 v[70:71], v[8:9], v[18:19]
	;; [unrolled: 1-line block ×3, first 2 shown]
	s_mov_b32 s10, 0x7e0b738b
	s_mov_b32 s11, 0x3fc63a1a
	v_add_f64 v[8:9], v[8:9], -v[18:19]
	v_fma_f64 v[18:19], v[46:47], s[10:11], v[20:21]
	v_add_f64 v[10:11], v[10:11], -v[16:17]
	v_fma_f64 v[16:17], v[56:57], s[10:11], v[22:23]
	v_fma_f64 v[20:21], v[4:5], s[0:1], v[32:33]
	;; [unrolled: 1-line block ×6, first 2 shown]
	s_mov_b32 s2, 0xe8584cab
	s_mov_b32 s3, 0x3febb67a
	v_fma_f64 v[40:41], v[54:55], s[10:11], v[60:61]
	v_fma_f64 v[42:43], v[12:13], s[0:1], v[64:65]
	;; [unrolled: 1-line block ×3, first 2 shown]
	v_add_f64 v[80:81], v[68:69], v[72:73]
	s_mov_b32 s1, 0xbfebb67a
	v_add_f64 v[82:83], v[70:71], v[74:75]
	s_mov_b32 s0, s2
	v_add_f64 v[64:65], v[50:51], v[4:5]
	v_fma_f64 v[34:35], v[8:9], s[2:3], v[34:35]
	v_fma_f64 v[18:19], v[68:69], -0.5, v[18:19]
	v_fma_f64 v[48:49], v[10:11], s[2:3], v[48:49]
	v_fma_f64 v[16:17], v[70:71], -0.5, v[16:17]
	v_add_f64 v[66:67], v[2:3], v[68:69]
	v_add_f64 v[76:77], v[0:1], v[70:71]
	;; [unrolled: 1-line block ×4, first 2 shown]
	v_fma_f64 v[20:21], v[8:9], s[0:1], v[20:21]
	v_fma_f64 v[22:23], v[68:69], -0.5, v[22:23]
	v_fma_f64 v[32:33], v[70:71], -0.5, v[32:33]
	v_fma_f64 v[36:37], v[10:11], s[0:1], v[36:37]
	v_fma_f64 v[38:39], v[68:69], -0.5, v[38:39]
	s_mov_b32 s10, 0x748a0bf8
	v_fma_f64 v[40:41], v[70:71], -0.5, v[40:41]
	v_fma_f64 v[8:9], v[8:9], s[2:3], v[42:43]
	v_fma_f64 v[10:11], v[10:11], s[2:3], v[60:61]
	v_add_f64 v[26:27], v[26:27], v[80:81]
	s_mov_b32 s11, 0x3fd5e3a8
	v_add_f64 v[24:25], v[24:25], v[82:83]
	v_add_f64 v[60:61], v[78:79], -v[14:15]
	v_add_f64 v[42:43], v[64:65], -v[12:13]
	v_fma_f64 v[34:35], v[4:5], s[10:11], v[34:35]
	v_fma_f64 v[18:19], v[58:59], s[16:17], v[18:19]
	;; [unrolled: 1-line block ×4, first 2 shown]
	v_fma_f64 v[64:65], v[72:73], -0.5, v[66:67]
	v_fma_f64 v[66:67], v[74:75], -0.5, v[76:77]
	v_fma_f64 v[58:59], v[12:13], s[10:11], v[20:21]
	v_fma_f64 v[12:13], v[44:45], s[16:17], v[22:23]
	;; [unrolled: 1-line block ×8, first 2 shown]
	v_add_f64 v[26:27], v[30:31], v[26:27]
	v_add_f64 v[24:25], v[28:29], v[24:25]
	v_mul_f64 v[46:47], v[60:61], s[2:3]
	v_mul_f64 v[44:45], v[42:43], s[2:3]
	v_add_f64 v[10:11], v[34:35], v[18:19]
	v_add_f64 v[8:9], v[16:17], -v[48:49]
	v_fma_f64 v[6:7], v[42:43], s[2:3], v[64:65]
	v_fma_f64 v[4:5], v[60:61], s[0:1], v[66:67]
	v_add_f64 v[14:15], v[58:59], v[12:13]
	v_add_f64 v[12:13], v[20:21], -v[32:33]
	v_add_f64 v[18:19], v[38:39], v[22:23]
	v_add_f64 v[16:17], v[36:37], -v[40:41]
	v_add_f64 v[2:3], v[2:3], v[26:27]
	v_add_f64 v[0:1], v[0:1], v[24:25]
	v_fma_f64 v[26:27], v[34:35], -2.0, v[10:11]
	v_fma_f64 v[24:25], v[48:49], 2.0, v[8:9]
	v_fma_f64 v[22:23], v[44:45], -2.0, v[6:7]
	v_fma_f64 v[20:21], v[46:47], 2.0, v[4:5]
	;; [unrolled: 2-line block ×4, first 2 shown]
	ds_write_b128 v189, v[0:3]
	ds_write_b128 v189, v[16:19] offset:1232
	ds_write_b128 v189, v[12:15] offset:2464
	;; [unrolled: 1-line block ×8, first 2 shown]
.LBB0_21:
	s_or_b32 exec_lo, exec_lo, s8
	s_waitcnt lgkmcnt(0)
	s_barrier
	buffer_gl0_inv
	s_and_b32 exec_lo, exec_lo, vcc_lo
	s_cbranch_execz .LBB0_23
; %bb.22:
	v_add_co_u32 v28, s0, s14, v189
	v_add_co_ci_u32_e64 v29, null, s15, 0, s0
	global_load_dwordx4 v[0:3], v189, s[14:15]
	v_add_co_u32 v16, vcc_lo, 0x800, v28
	v_add_co_ci_u32_e32 v17, vcc_lo, 0, v29, vcc_lo
	v_add_co_u32 v24, vcc_lo, 0x1000, v28
	v_add_co_ci_u32_e32 v25, vcc_lo, 0, v29, vcc_lo
	;; [unrolled: 2-line block ×3, first 2 shown]
	v_add_co_u32 v40, vcc_lo, 0x2000, v28
	s_clause 0x5
	global_load_dwordx4 v[4:7], v189, s[14:15] offset:1008
	global_load_dwordx4 v[8:11], v189, s[14:15] offset:2016
	global_load_dwordx4 v[12:15], v[16:17], off offset:976
	global_load_dwordx4 v[16:19], v[16:17], off offset:1984
	;; [unrolled: 1-line block ×4, first 2 shown]
	v_add_co_ci_u32_e32 v41, vcc_lo, 0, v29, vcc_lo
	s_clause 0x3
	global_load_dwordx4 v[28:31], v[32:33], off offset:912
	global_load_dwordx4 v[32:35], v[32:33], off offset:1920
	;; [unrolled: 1-line block ×4, first 2 shown]
	v_mad_u64_u32 v[44:45], null, s6, v108, 0
	v_mad_u64_u32 v[46:47], null, s4, v190, 0
	s_mul_i32 s2, s5, 0x3f0
	s_mul_hi_u32 s3, s4, 0x3f0
	s_mulk_i32 s4, 0x3f0
	s_add_i32 s3, s3, s2
	s_mov_b32 s0, 0x5e918c
	s_mov_b32 s1, 0x3f57a463
	v_mad_u64_u32 v[48:49], null, s7, v108, v[45:46]
	v_mad_u64_u32 v[49:50], null, s5, v190, v[47:48]
	v_mov_b32_e32 v45, v48
	v_lshlrev_b64 v[44:45], 4, v[44:45]
	v_mov_b32_e32 v47, v49
	v_lshlrev_b64 v[46:47], 4, v[46:47]
	v_add_co_u32 v44, vcc_lo, s12, v44
	v_add_co_ci_u32_e32 v45, vcc_lo, s13, v45, vcc_lo
	v_add_co_u32 v88, vcc_lo, v44, v46
	v_add_co_ci_u32_e32 v89, vcc_lo, v45, v47, vcc_lo
	ds_read_b128 v[44:47], v189
	ds_read_b128 v[48:51], v189 offset:1008
	ds_read_b128 v[52:55], v189 offset:2016
	;; [unrolled: 1-line block ×10, first 2 shown]
	v_add_co_u32 v90, vcc_lo, v88, s4
	v_add_co_ci_u32_e32 v91, vcc_lo, s3, v89, vcc_lo
	v_add_co_u32 v92, vcc_lo, v90, s4
	v_add_co_ci_u32_e32 v93, vcc_lo, s3, v91, vcc_lo
	;; [unrolled: 2-line block ×7, first 2 shown]
	s_waitcnt vmcnt(10) lgkmcnt(10)
	v_mul_f64 v[104:105], v[46:47], v[2:3]
	v_mul_f64 v[2:3], v[44:45], v[2:3]
	s_waitcnt vmcnt(9) lgkmcnt(9)
	v_mul_f64 v[106:107], v[50:51], v[6:7]
	v_mul_f64 v[6:7], v[48:49], v[6:7]
	;; [unrolled: 3-line block ×11, first 2 shown]
	v_fma_f64 v[44:45], v[44:45], v[0:1], v[104:105]
	v_fma_f64 v[2:3], v[0:1], v[46:47], -v[2:3]
	v_fma_f64 v[46:47], v[48:49], v[4:5], v[106:107]
	v_fma_f64 v[6:7], v[4:5], v[50:51], -v[6:7]
	;; [unrolled: 2-line block ×11, first 2 shown]
	v_mul_f64 v[0:1], v[44:45], s[0:1]
	v_mul_f64 v[2:3], v[2:3], s[0:1]
	;; [unrolled: 1-line block ×22, first 2 shown]
	v_add_co_u32 v44, vcc_lo, v102, s4
	v_add_co_ci_u32_e32 v45, vcc_lo, s3, v103, vcc_lo
	v_add_co_u32 v46, vcc_lo, v44, s4
	v_add_co_ci_u32_e32 v47, vcc_lo, s3, v45, vcc_lo
	;; [unrolled: 2-line block ×3, first 2 shown]
	global_store_dwordx4 v[88:89], v[0:3], off
	global_store_dwordx4 v[90:91], v[4:7], off
	;; [unrolled: 1-line block ×11, first 2 shown]
.LBB0_23:
	s_endpgm
	.section	.rodata,"a",@progbits
	.p2align	6, 0x0
	.amdhsa_kernel bluestein_single_fwd_len693_dim1_dp_op_CI_CI
		.amdhsa_group_segment_fixed_size 11088
		.amdhsa_private_segment_fixed_size 0
		.amdhsa_kernarg_size 104
		.amdhsa_user_sgpr_count 6
		.amdhsa_user_sgpr_private_segment_buffer 1
		.amdhsa_user_sgpr_dispatch_ptr 0
		.amdhsa_user_sgpr_queue_ptr 0
		.amdhsa_user_sgpr_kernarg_segment_ptr 1
		.amdhsa_user_sgpr_dispatch_id 0
		.amdhsa_user_sgpr_flat_scratch_init 0
		.amdhsa_user_sgpr_private_segment_size 0
		.amdhsa_wavefront_size32 1
		.amdhsa_uses_dynamic_stack 0
		.amdhsa_system_sgpr_private_segment_wavefront_offset 0
		.amdhsa_system_sgpr_workgroup_id_x 1
		.amdhsa_system_sgpr_workgroup_id_y 0
		.amdhsa_system_sgpr_workgroup_id_z 0
		.amdhsa_system_sgpr_workgroup_info 0
		.amdhsa_system_vgpr_workitem_id 0
		.amdhsa_next_free_vgpr 254
		.amdhsa_next_free_sgpr 40
		.amdhsa_reserve_vcc 1
		.amdhsa_reserve_flat_scratch 0
		.amdhsa_float_round_mode_32 0
		.amdhsa_float_round_mode_16_64 0
		.amdhsa_float_denorm_mode_32 3
		.amdhsa_float_denorm_mode_16_64 3
		.amdhsa_dx10_clamp 1
		.amdhsa_ieee_mode 1
		.amdhsa_fp16_overflow 0
		.amdhsa_workgroup_processor_mode 1
		.amdhsa_memory_ordered 1
		.amdhsa_forward_progress 0
		.amdhsa_shared_vgpr_count 0
		.amdhsa_exception_fp_ieee_invalid_op 0
		.amdhsa_exception_fp_denorm_src 0
		.amdhsa_exception_fp_ieee_div_zero 0
		.amdhsa_exception_fp_ieee_overflow 0
		.amdhsa_exception_fp_ieee_underflow 0
		.amdhsa_exception_fp_ieee_inexact 0
		.amdhsa_exception_int_div_zero 0
	.end_amdhsa_kernel
	.text
.Lfunc_end0:
	.size	bluestein_single_fwd_len693_dim1_dp_op_CI_CI, .Lfunc_end0-bluestein_single_fwd_len693_dim1_dp_op_CI_CI
                                        ; -- End function
	.section	.AMDGPU.csdata,"",@progbits
; Kernel info:
; codeLenInByte = 14716
; NumSgprs: 42
; NumVgprs: 254
; ScratchSize: 0
; MemoryBound: 0
; FloatMode: 240
; IeeeMode: 1
; LDSByteSize: 11088 bytes/workgroup (compile time only)
; SGPRBlocks: 5
; VGPRBlocks: 31
; NumSGPRsForWavesPerEU: 42
; NumVGPRsForWavesPerEU: 254
; Occupancy: 4
; WaveLimiterHint : 1
; COMPUTE_PGM_RSRC2:SCRATCH_EN: 0
; COMPUTE_PGM_RSRC2:USER_SGPR: 6
; COMPUTE_PGM_RSRC2:TRAP_HANDLER: 0
; COMPUTE_PGM_RSRC2:TGID_X_EN: 1
; COMPUTE_PGM_RSRC2:TGID_Y_EN: 0
; COMPUTE_PGM_RSRC2:TGID_Z_EN: 0
; COMPUTE_PGM_RSRC2:TIDIG_COMP_CNT: 0
	.text
	.p2alignl 6, 3214868480
	.fill 48, 4, 3214868480
	.type	__hip_cuid_3ce74ff9be28bb2a,@object ; @__hip_cuid_3ce74ff9be28bb2a
	.section	.bss,"aw",@nobits
	.globl	__hip_cuid_3ce74ff9be28bb2a
__hip_cuid_3ce74ff9be28bb2a:
	.byte	0                               ; 0x0
	.size	__hip_cuid_3ce74ff9be28bb2a, 1

	.ident	"AMD clang version 19.0.0git (https://github.com/RadeonOpenCompute/llvm-project roc-6.4.0 25133 c7fe45cf4b819c5991fe208aaa96edf142730f1d)"
	.section	".note.GNU-stack","",@progbits
	.addrsig
	.addrsig_sym __hip_cuid_3ce74ff9be28bb2a
	.amdgpu_metadata
---
amdhsa.kernels:
  - .args:
      - .actual_access:  read_only
        .address_space:  global
        .offset:         0
        .size:           8
        .value_kind:     global_buffer
      - .actual_access:  read_only
        .address_space:  global
        .offset:         8
        .size:           8
        .value_kind:     global_buffer
      - .actual_access:  read_only
        .address_space:  global
        .offset:         16
        .size:           8
        .value_kind:     global_buffer
      - .actual_access:  read_only
        .address_space:  global
        .offset:         24
        .size:           8
        .value_kind:     global_buffer
      - .actual_access:  read_only
        .address_space:  global
        .offset:         32
        .size:           8
        .value_kind:     global_buffer
      - .offset:         40
        .size:           8
        .value_kind:     by_value
      - .address_space:  global
        .offset:         48
        .size:           8
        .value_kind:     global_buffer
      - .address_space:  global
        .offset:         56
        .size:           8
        .value_kind:     global_buffer
      - .address_space:  global
        .offset:         64
        .size:           8
        .value_kind:     global_buffer
      - .address_space:  global
        .offset:         72
        .size:           8
        .value_kind:     global_buffer
      - .offset:         80
        .size:           4
        .value_kind:     by_value
      - .address_space:  global
        .offset:         88
        .size:           8
        .value_kind:     global_buffer
      - .address_space:  global
        .offset:         96
        .size:           8
        .value_kind:     global_buffer
    .group_segment_fixed_size: 11088
    .kernarg_segment_align: 8
    .kernarg_segment_size: 104
    .language:       OpenCL C
    .language_version:
      - 2
      - 0
    .max_flat_workgroup_size: 99
    .name:           bluestein_single_fwd_len693_dim1_dp_op_CI_CI
    .private_segment_fixed_size: 0
    .sgpr_count:     42
    .sgpr_spill_count: 0
    .symbol:         bluestein_single_fwd_len693_dim1_dp_op_CI_CI.kd
    .uniform_work_group_size: 1
    .uses_dynamic_stack: false
    .vgpr_count:     254
    .vgpr_spill_count: 0
    .wavefront_size: 32
    .workgroup_processor_mode: 1
amdhsa.target:   amdgcn-amd-amdhsa--gfx1030
amdhsa.version:
  - 1
  - 2
...

	.end_amdgpu_metadata
